;; amdgpu-corpus repo=ROCm/AMDMIGraphX kind=compiled arch=gfx1201 opt=O3
	.text
	.amdgcn_target "amdgcn-amd-amdhsa--gfx1201"
	.amdhsa_code_object_version 6
	.protected	prefix_scan_sum_f32     ; -- Begin function prefix_scan_sum_f32
	.globl	prefix_scan_sum_f32
	.p2align	8
	.type	prefix_scan_sum_f32,@function
prefix_scan_sum_f32:                    ; @prefix_scan_sum_f32
; %bb.0:
	s_cmp_gt_u32 ttmp9, 7
	s_cbranch_scc1 .LBB0_11
; %bb.1:
	s_load_b128 s[4:7], s[0:1], 0x0
	v_cmp_gt_u32_e32 vcc_lo, 0x100, v0
	v_dual_mov_b32 v2, 0 :: v_dual_lshlrev_b32 v1, 2, v0
	s_lshl_b32 s8, ttmp9, 8
	s_mov_b32 s9, 0
	s_and_saveexec_b32 s0, vcc_lo
	s_cbranch_execz .LBB0_3
; %bb.2:
	s_lshl_b64 s[2:3], s[8:9], 2
	s_wait_kmcnt 0x0
	s_add_nc_u64 s[2:3], s[4:5], s[2:3]
	global_load_b32 v2, v1, s[2:3]
.LBB0_3:
	s_or_b32 exec_lo, exec_lo, s0
	v_mbcnt_lo_u32_b32 v6, -1, 0
	v_and_b32_e32 v12, 31, v0
	s_wait_kmcnt 0x0
	s_mov_b32 s5, exec_lo
	s_delay_alu instid0(VALU_DEP_2) | instskip(SKIP_3) | instid1(VALU_DEP_4)
	v_add_nc_u32_e32 v3, -1, v6
	v_add_nc_u32_e32 v9, -4, v6
	;; [unrolled: 1-line block ×4, first 2 shown]
	v_cmp_gt_i32_e64 s0, 0, v3
	s_delay_alu instid0(VALU_DEP_4) | instskip(NEXT) | instid1(VALU_DEP_4)
	v_cmp_gt_i32_e64 s1, 0, v9
	v_cmp_gt_i32_e64 s2, 0, v11
	s_delay_alu instid0(VALU_DEP_4) | instskip(NEXT) | instid1(VALU_DEP_4)
	v_cmp_gt_i32_e64 s3, 0, v14
	v_cndmask_b32_e64 v3, v3, v6, s0
	s_delay_alu instid0(VALU_DEP_4)
	v_cndmask_b32_e64 v9, v9, v6, s1
	v_cmp_lt_u32_e64 s1, 1, v12
	v_cndmask_b32_e64 v11, v11, v6, s2
	v_cmp_lt_u32_e64 s2, 3, v12
	v_lshlrev_b32_e32 v5, 2, v3
	v_lshlrev_b32_e32 v9, 2, v9
	s_delay_alu instid0(VALU_DEP_4) | instskip(SKIP_4) | instid1(VALU_DEP_1)
	v_lshlrev_b32_e32 v11, 2, v11
	s_wait_loadcnt 0x0
	ds_bpermute_b32 v3, v5, v2
	s_wait_dscnt 0x0
	v_dual_add_f32 v3, v2, v3 :: v_dual_add_nc_u32 v4, -2, v6
	v_cmp_gt_i32_e64 s0, 0, v4
	s_wait_alu 0xf1ff
	s_delay_alu instid0(VALU_DEP_1) | instskip(SKIP_3) | instid1(VALU_DEP_4)
	v_cndmask_b32_e64 v4, v4, v6, s0
	v_cmp_eq_u32_e64 s0, 0, v12
	v_cndmask_b32_e64 v6, v14, v6, s3
	v_cmp_lt_u32_e64 s3, 7, v12
	v_lshlrev_b32_e32 v7, 2, v4
	s_wait_alu 0xf1ff
	v_cndmask_b32_e64 v8, v3, v2, s0
	v_lshlrev_b32_e32 v14, 2, v6
	ds_bpermute_b32 v4, v7, v8
	s_wait_dscnt 0x0
	v_add_f32_e32 v4, v8, v4
	s_delay_alu instid0(VALU_DEP_1) | instskip(SKIP_3) | instid1(VALU_DEP_1)
	v_cndmask_b32_e64 v10, v8, v4, s1
	ds_bpermute_b32 v8, v9, v10
	s_wait_dscnt 0x0
	v_add_f32_e32 v8, v10, v8
	v_cndmask_b32_e64 v13, v10, v8, s2
	ds_bpermute_b32 v10, v11, v13
	s_wait_dscnt 0x0
	v_add_f32_e32 v10, v13, v10
	s_delay_alu instid0(VALU_DEP_1)
	v_cndmask_b32_e64 v6, v13, v10, s3
	ds_bpermute_b32 v13, v14, v6
	v_lshrrev_b32_e32 v6, 5, v0
	s_wait_dscnt 0x0
	v_add_f32_e32 v13, v10, v13
	v_cmpx_eq_u32_e32 31, v12
	s_cbranch_execz .LBB0_5
; %bb.4:
	v_lshlrev_b32_e32 v15, 2, v6
	ds_store_b32 v15, v13
.LBB0_5:
	s_or_b32 exec_lo, exec_lo, s5
	v_cmp_lt_u32_e64 s4, 15, v12
	s_mov_b32 s10, exec_lo
	global_wb scope:SCOPE_SE
	s_wait_dscnt 0x0
	s_barrier_signal -1
	s_barrier_wait -1
	global_inv scope:SCOPE_SE
	v_cmpx_gt_u32_e32 8, v0
	s_cbranch_execz .LBB0_7
; %bb.6:
	ds_load_b32 v12, v1
	s_wait_dscnt 0x0
	ds_bpermute_b32 v5, v5, v12
	s_wait_dscnt 0x0
	v_add_f32_e32 v5, v12, v5
	s_delay_alu instid0(VALU_DEP_1) | instskip(SKIP_3) | instid1(VALU_DEP_1)
	v_cndmask_b32_e64 v15, v5, v12, s0
	ds_bpermute_b32 v7, v7, v15
	s_wait_dscnt 0x0
	v_add_f32_e32 v7, v15, v7
	v_cndmask_b32_e64 v15, v15, v7, s1
	ds_bpermute_b32 v9, v9, v15
	s_wait_dscnt 0x0
	v_add_f32_e32 v9, v15, v9
	s_delay_alu instid0(VALU_DEP_1) | instskip(SKIP_3) | instid1(VALU_DEP_1)
	v_cndmask_b32_e64 v15, v15, v9, s2
	ds_bpermute_b32 v11, v11, v15
	s_wait_dscnt 0x0
	v_add_f32_e32 v11, v15, v11
	v_cndmask_b32_e64 v15, v15, v11, s3
	ds_bpermute_b32 v14, v14, v15
	s_wait_dscnt 0x0
	v_add_f32_e32 v14, v11, v14
	s_delay_alu instid0(VALU_DEP_1) | instskip(NEXT) | instid1(VALU_DEP_1)
	v_cndmask_b32_e64 v11, v11, v14, s4
	v_cndmask_b32_e64 v9, v9, v11, s3
	s_delay_alu instid0(VALU_DEP_1) | instskip(NEXT) | instid1(VALU_DEP_1)
	v_cndmask_b32_e64 v7, v7, v9, s2
	v_cndmask_b32_e64 v5, v5, v7, s1
	s_delay_alu instid0(VALU_DEP_1)
	v_cndmask_b32_e64 v5, v5, v12, s0
	ds_store_b32 v1, v5
.LBB0_7:
	s_or_b32 exec_lo, exec_lo, s10
	v_cndmask_b32_e64 v5, v10, v13, s4
	global_wb scope:SCOPE_SE
	s_wait_dscnt 0x0
	s_barrier_signal -1
	s_barrier_wait -1
	global_inv scope:SCOPE_SE
	v_cndmask_b32_e64 v5, v8, v5, s3
	s_delay_alu instid0(VALU_DEP_1) | instskip(NEXT) | instid1(VALU_DEP_1)
	v_cndmask_b32_e64 v4, v4, v5, s2
	v_cndmask_b32_e64 v3, v3, v4, s1
	s_mov_b32 s1, exec_lo
	s_delay_alu instid0(VALU_DEP_1)
	v_cndmask_b32_e64 v2, v3, v2, s0
	v_cmpx_lt_u32_e32 31, v0
	s_cbranch_execz .LBB0_9
; %bb.8:
	v_lshl_add_u32 v0, v6, 2, -4
	ds_load_b32 v0, v0
	s_wait_dscnt 0x0
	v_add_f32_e32 v2, v2, v0
.LBB0_9:
	s_wait_alu 0xfffe
	s_or_b32 exec_lo, exec_lo, s1
	s_and_saveexec_b32 s0, vcc_lo
	s_cbranch_execz .LBB0_11
; %bb.10:
	v_add_f32_e32 v0, 0, v2
	s_lshl_b64 s[0:1], s[8:9], 2
	s_wait_alu 0xfffe
	s_add_nc_u64 s[0:1], s[6:7], s[0:1]
	global_store_b32 v1, v0, s[0:1]
.LBB0_11:
	s_nop 0
	s_sendmsg sendmsg(MSG_DEALLOC_VGPRS)
	s_endpgm
	.section	.rodata,"a",@progbits
	.p2align	6, 0x0
	.amdhsa_kernel prefix_scan_sum_f32
		.amdhsa_group_segment_fixed_size 32
		.amdhsa_private_segment_fixed_size 0
		.amdhsa_kernarg_size 16
		.amdhsa_user_sgpr_count 2
		.amdhsa_user_sgpr_dispatch_ptr 0
		.amdhsa_user_sgpr_queue_ptr 0
		.amdhsa_user_sgpr_kernarg_segment_ptr 1
		.amdhsa_user_sgpr_dispatch_id 0
		.amdhsa_user_sgpr_private_segment_size 0
		.amdhsa_wavefront_size32 1
		.amdhsa_uses_dynamic_stack 0
		.amdhsa_enable_private_segment 0
		.amdhsa_system_sgpr_workgroup_id_x 1
		.amdhsa_system_sgpr_workgroup_id_y 0
		.amdhsa_system_sgpr_workgroup_id_z 0
		.amdhsa_system_sgpr_workgroup_info 0
		.amdhsa_system_vgpr_workitem_id 0
		.amdhsa_next_free_vgpr 16
		.amdhsa_next_free_sgpr 11
		.amdhsa_reserve_vcc 1
		.amdhsa_float_round_mode_32 0
		.amdhsa_float_round_mode_16_64 0
		.amdhsa_float_denorm_mode_32 3
		.amdhsa_float_denorm_mode_16_64 3
		.amdhsa_fp16_overflow 0
		.amdhsa_workgroup_processor_mode 1
		.amdhsa_memory_ordered 1
		.amdhsa_forward_progress 0
		.amdhsa_round_robin_scheduling 0
		.amdhsa_exception_fp_ieee_invalid_op 0
		.amdhsa_exception_fp_denorm_src 0
		.amdhsa_exception_fp_ieee_div_zero 0
		.amdhsa_exception_fp_ieee_overflow 0
		.amdhsa_exception_fp_ieee_underflow 0
		.amdhsa_exception_fp_ieee_inexact 0
		.amdhsa_exception_int_div_zero 0
	.end_amdhsa_kernel
	.text
.Lfunc_end0:
	.size	prefix_scan_sum_f32, .Lfunc_end0-prefix_scan_sum_f32
                                        ; -- End function
	.section	.AMDGPU.csdata,"",@progbits
; Kernel info:
; codeLenInByte = 860
; NumSgprs: 13
; NumVgprs: 16
; ScratchSize: 0
; MemoryBound: 0
; FloatMode: 240
; IeeeMode: 1
; LDSByteSize: 32 bytes/workgroup (compile time only)
; SGPRBlocks: 1
; VGPRBlocks: 1
; NumSGPRsForWavesPerEU: 13
; NumVGPRsForWavesPerEU: 16
; Occupancy: 16
; WaveLimiterHint : 0
; COMPUTE_PGM_RSRC2:SCRATCH_EN: 0
; COMPUTE_PGM_RSRC2:USER_SGPR: 2
; COMPUTE_PGM_RSRC2:TRAP_HANDLER: 0
; COMPUTE_PGM_RSRC2:TGID_X_EN: 1
; COMPUTE_PGM_RSRC2:TGID_Y_EN: 0
; COMPUTE_PGM_RSRC2:TGID_Z_EN: 0
; COMPUTE_PGM_RSRC2:TIDIG_COMP_CNT: 0
	.text
	.p2alignl 7, 3214868480
	.fill 96, 4, 3214868480
	.type	__hip_cuid_abe0a92f4e3532c5,@object ; @__hip_cuid_abe0a92f4e3532c5
	.section	.bss,"aw",@nobits
	.globl	__hip_cuid_abe0a92f4e3532c5
__hip_cuid_abe0a92f4e3532c5:
	.byte	0                               ; 0x0
	.size	__hip_cuid_abe0a92f4e3532c5, 1

	.ident	"AMD clang version 19.0.0git (https://github.com/RadeonOpenCompute/llvm-project roc-6.4.0 25133 c7fe45cf4b819c5991fe208aaa96edf142730f1d)"
	.section	".note.GNU-stack","",@progbits
	.addrsig
	.addrsig_sym __hip_cuid_abe0a92f4e3532c5
	.amdgpu_metadata
---
amdhsa.kernels:
  - .args:
      - .address_space:  global
        .offset:         0
        .size:           8
        .value_kind:     global_buffer
      - .address_space:  global
        .offset:         8
        .size:           8
        .value_kind:     global_buffer
    .group_segment_fixed_size: 32
    .kernarg_segment_align: 8
    .kernarg_segment_size: 16
    .language:       OpenCL C
    .language_version:
      - 2
      - 0
    .max_flat_workgroup_size: 1024
    .name:           prefix_scan_sum_f32
    .private_segment_fixed_size: 0
    .sgpr_count:     13
    .sgpr_spill_count: 0
    .symbol:         prefix_scan_sum_f32.kd
    .uniform_work_group_size: 1
    .uses_dynamic_stack: false
    .vgpr_count:     16
    .vgpr_spill_count: 0
    .wavefront_size: 32
    .workgroup_processor_mode: 1
amdhsa.target:   amdgcn-amd-amdhsa--gfx1201
amdhsa.version:
  - 1
  - 2
...

	.end_amdgpu_metadata
